;; amdgpu-corpus repo=llvm/llvm-project kind=harvested arch=n/a opt=n/a
// NOTE: Assertions have been autogenerated by utils/update_mc_test_checks.py UTC_ARGS: --unique --version 5
// RUN: llvm-mc -triple=amdgcn -mcpu=gfx1170 -mattr=+real-true16 -show-encoding %s | FileCheck --check-prefixes=GFX1170 %s
// RUN: llvm-mc -triple=amdgcn -mcpu=gfx1170 -mattr=+real-true16 -show-encoding %s | %extract-encodings | llvm-mc -triple=amdgcn -mcpu=gfx1170 -mattr=+real-true16 -disassemble -show-encoding | FileCheck --strict-whitespace --check-prefixes=GFX1170 %s

v_max_num_f16_e64 v5.l, v1.l, v2.l
// GFX1170: v_max_num_f16_e64 v5.l, v1.l, v2.l      ; encoding: [0x05,0x00,0x39,0xd5,0x01,0x05,0x02,0x02]

v_max_num_f16_e64 v5.l, v255.l, v255.l
// GFX1170: v_max_num_f16_e64 v5.l, v255.l, v255.l  ; encoding: [0x05,0x00,0x39,0xd5,0xff,0xff,0x03,0x02]

v_max_num_f16_e64 v5.l, s1, s2
// GFX1170: v_max_num_f16_e64 v5.l, s1, s2          ; encoding: [0x05,0x00,0x39,0xd5,0x01,0x04,0x00,0x02]

v_max_num_f16_e64 v5.l, s105, s105
// GFX1170: v_max_num_f16_e64 v5.l, s105, s105      ; encoding: [0x05,0x00,0x39,0xd5,0x69,0xd2,0x00,0x02]

v_max_num_f16_e64 v5.l, vcc_lo, ttmp15
// GFX1170: v_max_num_f16_e64 v5.l, vcc_lo, ttmp15  ; encoding: [0x05,0x00,0x39,0xd5,0x6a,0xf6,0x00,0x02]

v_max_num_f16_e64 v5.l, vcc_hi, 0xfe0b
// GFX1170: v_max_num_f16_e64 v5.l, vcc_hi, 0xfe0b  ; encoding: [0x05,0x00,0x39,0xd5,0x6b,0xfe,0x01,0x02,0x0b,0xfe,0x00,0x00]

v_max_num_f16_e64 v5.l, ttmp15, src_scc
// GFX1170: v_max_num_f16_e64 v5.l, ttmp15, src_scc ; encoding: [0x05,0x00,0x39,0xd5,0x7b,0xfa,0x01,0x02]

v_max_num_f16_e64 v5.l, m0, 0.5
// GFX1170: v_max_num_f16_e64 v5.l, m0, 0.5         ; encoding: [0x05,0x00,0x39,0xd5,0x7d,0xe0,0x01,0x02]

v_max_num_f16_e64 v5.l, exec_lo, -1
// GFX1170: v_max_num_f16_e64 v5.l, exec_lo, -1     ; encoding: [0x05,0x00,0x39,0xd5,0x7e,0x82,0x01,0x02]

v_max_num_f16_e64 v5.l, |exec_hi|, null
// GFX1170: v_max_num_f16_e64 v5.l, |exec_hi|, null ; encoding: [0x05,0x01,0x39,0xd5,0x7f,0xf8,0x00,0x02]

v_max_num_f16_e64 v5.l, null, exec_lo
// GFX1170: v_max_num_f16_e64 v5.l, null, exec_lo   ; encoding: [0x05,0x00,0x39,0xd5,0x7c,0xfc,0x00,0x02]

v_max_num_f16_e64 v5.l, -1, exec_hi
// GFX1170: v_max_num_f16_e64 v5.l, -1, exec_hi     ; encoding: [0x05,0x00,0x39,0xd5,0xc1,0xfe,0x00,0x02]

v_max_num_f16_e64 v5.l, 0.5, -m0 mul:2
// GFX1170: v_max_num_f16_e64 v5.l, 0.5, -m0 mul:2  ; encoding: [0x05,0x00,0x39,0xd5,0xf0,0xfa,0x00,0x4a]

v_max_num_f16_e64 v5.l, -src_scc, |vcc_lo| mul:4
// GFX1170: v_max_num_f16_e64 v5.l, -src_scc, |vcc_lo| mul:4 ; encoding: [0x05,0x02,0x39,0xd5,0xfd,0xd4,0x00,0x32]

v_max_num_f16_e64 v255.l, -|0xfe0b|, -|vcc_hi| clamp div:2
// GFX1170: v_max_num_f16_e64 v255.l, -|0xfe0b|, -|vcc_hi| clamp div:2 ; encoding: [0xff,0x83,0x39,0xd5,0xff,0xd6,0x00,0x7a,0x0b,0xfe,0x00,0x00]

v_max_num_f16_e64 v5.l, v1.h, v2.l
// GFX1170: v_max_num_f16_e64 v5.l, v1.h, v2.l op_sel:[1,0,0] ; encoding: [0x05,0x08,0x39,0xd5,0x01,0x05,0x02,0x02]

v_max_num_f16_e64 v5.l, v255.l, v255.h
// GFX1170: v_max_num_f16_e64 v5.l, v255.l, v255.h op_sel:[0,1,0] ; encoding: [0x05,0x10,0x39,0xd5,0xff,0xff,0x03,0x02]

v_max_num_f16_e64 v255.h, -|0xfe0b|, -|vcc_hi| clamp div:2
// GFX1170: v_max_num_f16_e64 v255.h, -|0xfe0b|, -|vcc_hi| op_sel:[0,0,1] clamp div:2 ; encoding: [0xff,0xc3,0x39,0xd5,0xff,0xd6,0x00,0x7a,0x0b,0xfe,0x00,0x00]

v_max_num_f32_e64 v5, v1, v2
// GFX1170: v_max_num_f32_e64 v5, v1, v2            ; encoding: [0x05,0x00,0x10,0xd5,0x01,0x05,0x02,0x02]

v_max_num_f32_e64 v5, v255, v255
// GFX1170: v_max_num_f32_e64 v5, v255, v255        ; encoding: [0x05,0x00,0x10,0xd5,0xff,0xff,0x03,0x02]

v_max_num_f32_e64 v5, s1, s2
// GFX1170: v_max_num_f32_e64 v5, s1, s2            ; encoding: [0x05,0x00,0x10,0xd5,0x01,0x04,0x00,0x02]

v_max_num_f32_e64 v5, s105, s105
// GFX1170: v_max_num_f32_e64 v5, s105, s105        ; encoding: [0x05,0x00,0x10,0xd5,0x69,0xd2,0x00,0x02]

v_max_num_f32_e64 v5, vcc_lo, ttmp15
// GFX1170: v_max_num_f32_e64 v5, vcc_lo, ttmp15    ; encoding: [0x05,0x00,0x10,0xd5,0x6a,0xf6,0x00,0x02]

v_max_num_f32_e64 v5, vcc_hi, 0xaf123456
// GFX1170: v_max_num_f32_e64 v5, vcc_hi, 0xaf123456 ; encoding: [0x05,0x00,0x10,0xd5,0x6b,0xfe,0x01,0x02,0x56,0x34,0x12,0xaf]

v_max_num_f32_e64 v5, ttmp15, src_scc
// GFX1170: v_max_num_f32_e64 v5, ttmp15, src_scc   ; encoding: [0x05,0x00,0x10,0xd5,0x7b,0xfa,0x01,0x02]

v_max_num_f32_e64 v5, m0, 0.5
// GFX1170: v_max_num_f32_e64 v5, m0, 0.5           ; encoding: [0x05,0x00,0x10,0xd5,0x7d,0xe0,0x01,0x02]

v_max_num_f32_e64 v5, exec_lo, -1
// GFX1170: v_max_num_f32_e64 v5, exec_lo, -1       ; encoding: [0x05,0x00,0x10,0xd5,0x7e,0x82,0x01,0x02]

v_max_num_f32_e64 v5, |exec_hi|, null
// GFX1170: v_max_num_f32_e64 v5, |exec_hi|, null   ; encoding: [0x05,0x01,0x10,0xd5,0x7f,0xf8,0x00,0x02]

v_max_num_f32_e64 v5, null, exec_lo
// GFX1170: v_max_num_f32_e64 v5, null, exec_lo     ; encoding: [0x05,0x00,0x10,0xd5,0x7c,0xfc,0x00,0x02]

v_max_num_f32_e64 v5, -1, exec_hi
// GFX1170: v_max_num_f32_e64 v5, -1, exec_hi       ; encoding: [0x05,0x00,0x10,0xd5,0xc1,0xfe,0x00,0x02]

v_max_num_f32_e64 v5, 0.5, -m0 mul:2
// GFX1170: v_max_num_f32_e64 v5, 0.5, -m0 mul:2    ; encoding: [0x05,0x00,0x10,0xd5,0xf0,0xfa,0x00,0x4a]

v_max_num_f32_e64 v5, -src_scc, |vcc_lo| mul:4
// GFX1170: v_max_num_f32_e64 v5, -src_scc, |vcc_lo| mul:4 ; encoding: [0x05,0x02,0x10,0xd5,0xfd,0xd4,0x00,0x32]

v_max_num_f32_e64 v255, -|0xaf123456|, -|vcc_hi| clamp div:2
// GFX1170: v_max_num_f32_e64 v255, -|0xaf123456|, -|vcc_hi| clamp div:2 ; encoding: [0xff,0x83,0x10,0xd5,0xff,0xd6,0x00,0x7a,0x56,0x34,0x12,0xaf]

v_max_num_f64_e64 v[5:6], v[2:3], v[4:5]
// GFX1170: v_max_num_f64 v[5:6], v[2:3], v[4:5]    ; encoding: [0x05,0x00,0x2a,0xd7,0x02,0x09,0x02,0x02]

v_max_num_f64_e64 v[5:6], v[104:105], v[104:105]
// GFX1170: v_max_num_f64 v[5:6], v[104:105], v[104:105] ; encoding: [0x05,0x00,0x2a,0xd7,0x68,0xd1,0x02,0x02]

v_max_num_f64_e64 v[5:6], s[2:3], s[4:5]
// GFX1170: v_max_num_f64 v[5:6], s[2:3], s[4:5]    ; encoding: [0x05,0x00,0x2a,0xd7,0x02,0x08,0x00,0x02]

v_max_num_f64_e64 v[5:6], s[104:105], s[104:105]
// GFX1170: v_max_num_f64 v[5:6], s[104:105], s[104:105] ; encoding: [0x05,0x00,0x2a,0xd7,0x68,0xd0,0x00,0x02]

v_max_num_f64_e64 v[5:6], vcc, ttmp[14:15]
// GFX1170: v_max_num_f64 v[5:6], vcc, ttmp[14:15]  ; encoding: [0x05,0x00,0x2a,0xd7,0x6a,0xf4,0x00,0x02]

v_max_num_f64_e64 v[5:6], ttmp[14:15], 0xaf123456
// GFX1170: v_max_num_f64 v[5:6], ttmp[14:15], 0xaf123456 ; encoding: [0x05,0x00,0x2a,0xd7,0x7a,0xfe,0x01,0x02,0x56,0x34,0x12,0xaf]

v_max_num_f64_e64 v[5:6], -|exec|, src_scc
// GFX1170: v_max_num_f64 v[5:6], -|exec|, src_scc  ; encoding: [0x05,0x01,0x2a,0xd7,0x7e,0xfa,0x01,0x22]

v_max_num_f64_e64 v[5:6], null, 0.5
// GFX1170: v_max_num_f64 v[5:6], null, 0.5         ; encoding: [0x05,0x00,0x2a,0xd7,0x7c,0xe0,0x01,0x02]

v_max_num_f64_e64 v[5:6], -1, -1
// GFX1170: v_max_num_f64 v[5:6], -1, -1            ; encoding: [0x05,0x00,0x2a,0xd7,0xc1,0x82,0x01,0x02]

v_max_num_f64_e64 v[5:6], 0.5, null mul:2
// GFX1170: v_max_num_f64 v[5:6], 0.5, null mul:2   ; encoding: [0x05,0x00,0x2a,0xd7,0xf0,0xf8,0x00,0x0a]

v_max_num_f64_e64 v[5:6], -|src_scc|, -|exec| mul:4
// GFX1170: v_max_num_f64 v[5:6], -|src_scc|, -|exec| mul:4 ; encoding: [0x05,0x03,0x2a,0xd7,0xfd,0xfc,0x00,0x72]

v_max_num_f64_e64 v[254:255], 0xaf123456, -|vcc| clamp div:2
// GFX1170: v_max_num_f64 v[254:255], 0xaf123456, -|vcc| clamp div:2 ; encoding: [0xfe,0x82,0x2a,0xd7,0xff,0xd4,0x00,0x5a,0x56,0x34,0x12,0xaf]

v_min_num_f16_e64 v5.l, v1.l, v2.l
// GFX1170: v_min_num_f16_e64 v5.l, v1.l, v2.l      ; encoding: [0x05,0x00,0x3a,0xd5,0x01,0x05,0x02,0x02]

v_min_num_f16_e64 v5.l, v255.l, v255.l
// GFX1170: v_min_num_f16_e64 v5.l, v255.l, v255.l  ; encoding: [0x05,0x00,0x3a,0xd5,0xff,0xff,0x03,0x02]

v_min_num_f16_e64 v5.l, s1, s2
// GFX1170: v_min_num_f16_e64 v5.l, s1, s2          ; encoding: [0x05,0x00,0x3a,0xd5,0x01,0x04,0x00,0x02]

v_min_num_f16_e64 v5.l, s105, s105
// GFX1170: v_min_num_f16_e64 v5.l, s105, s105      ; encoding: [0x05,0x00,0x3a,0xd5,0x69,0xd2,0x00,0x02]

v_min_num_f16_e64 v5.l, vcc_lo, ttmp15
// GFX1170: v_min_num_f16_e64 v5.l, vcc_lo, ttmp15  ; encoding: [0x05,0x00,0x3a,0xd5,0x6a,0xf6,0x00,0x02]

v_min_num_f16_e64 v5.l, vcc_hi, 0xfe0b
// GFX1170: v_min_num_f16_e64 v5.l, vcc_hi, 0xfe0b  ; encoding: [0x05,0x00,0x3a,0xd5,0x6b,0xfe,0x01,0x02,0x0b,0xfe,0x00,0x00]

v_min_num_f16_e64 v5.l, ttmp15, src_scc
// GFX1170: v_min_num_f16_e64 v5.l, ttmp15, src_scc ; encoding: [0x05,0x00,0x3a,0xd5,0x7b,0xfa,0x01,0x02]

v_min_num_f16_e64 v5.l, m0, 0.5
// GFX1170: v_min_num_f16_e64 v5.l, m0, 0.5         ; encoding: [0x05,0x00,0x3a,0xd5,0x7d,0xe0,0x01,0x02]

v_min_num_f16_e64 v5.l, exec_lo, -1
// GFX1170: v_min_num_f16_e64 v5.l, exec_lo, -1     ; encoding: [0x05,0x00,0x3a,0xd5,0x7e,0x82,0x01,0x02]

v_min_num_f16_e64 v5.l, |exec_hi|, null
// GFX1170: v_min_num_f16_e64 v5.l, |exec_hi|, null ; encoding: [0x05,0x01,0x3a,0xd5,0x7f,0xf8,0x00,0x02]

v_min_num_f16_e64 v5.l, null, exec_lo
// GFX1170: v_min_num_f16_e64 v5.l, null, exec_lo   ; encoding: [0x05,0x00,0x3a,0xd5,0x7c,0xfc,0x00,0x02]

v_min_num_f16_e64 v5.l, -1, exec_hi
// GFX1170: v_min_num_f16_e64 v5.l, -1, exec_hi     ; encoding: [0x05,0x00,0x3a,0xd5,0xc1,0xfe,0x00,0x02]

v_min_num_f16_e64 v5.l, 0.5, -m0 mul:2
// GFX1170: v_min_num_f16_e64 v5.l, 0.5, -m0 mul:2  ; encoding: [0x05,0x00,0x3a,0xd5,0xf0,0xfa,0x00,0x4a]

v_min_num_f16_e64 v5.l, -src_scc, |vcc_lo| mul:4
// GFX1170: v_min_num_f16_e64 v5.l, -src_scc, |vcc_lo| mul:4 ; encoding: [0x05,0x02,0x3a,0xd5,0xfd,0xd4,0x00,0x32]

v_min_num_f16_e64 v255.l, -|0xfe0b|, -|vcc_hi| clamp div:2
// GFX1170: v_min_num_f16_e64 v255.l, -|0xfe0b|, -|vcc_hi| clamp div:2 ; encoding: [0xff,0x83,0x3a,0xd5,0xff,0xd6,0x00,0x7a,0x0b,0xfe,0x00,0x00]

v_min_num_f16_e64 v5.l, v1.h, v2.l
// GFX1170: v_min_num_f16_e64 v5.l, v1.h, v2.l op_sel:[1,0,0] ; encoding: [0x05,0x08,0x3a,0xd5,0x01,0x05,0x02,0x02]

v_min_num_f16_e64 v5.l, v255.l, v255.h
// GFX1170: v_min_num_f16_e64 v5.l, v255.l, v255.h op_sel:[0,1,0] ; encoding: [0x05,0x10,0x3a,0xd5,0xff,0xff,0x03,0x02]

v_min_num_f16_e64 v255.h, -|0xfe0b|, -|vcc_hi| clamp div:2
// GFX1170: v_min_num_f16_e64 v255.h, -|0xfe0b|, -|vcc_hi| op_sel:[0,0,1] clamp div:2 ; encoding: [0xff,0xc3,0x3a,0xd5,0xff,0xd6,0x00,0x7a,0x0b,0xfe,0x00,0x00]

v_min_num_f32_e64 v5, v1, v2
// GFX1170: v_min_num_f32_e64 v5, v1, v2            ; encoding: [0x05,0x00,0x0f,0xd5,0x01,0x05,0x02,0x02]

v_min_num_f32_e64 v5, v255, v255
// GFX1170: v_min_num_f32_e64 v5, v255, v255        ; encoding: [0x05,0x00,0x0f,0xd5,0xff,0xff,0x03,0x02]

v_min_num_f32_e64 v5, s1, s2
// GFX1170: v_min_num_f32_e64 v5, s1, s2            ; encoding: [0x05,0x00,0x0f,0xd5,0x01,0x04,0x00,0x02]

v_min_num_f32_e64 v5, s105, s105
// GFX1170: v_min_num_f32_e64 v5, s105, s105        ; encoding: [0x05,0x00,0x0f,0xd5,0x69,0xd2,0x00,0x02]

v_min_num_f32_e64 v5, vcc_lo, ttmp15
// GFX1170: v_min_num_f32_e64 v5, vcc_lo, ttmp15    ; encoding: [0x05,0x00,0x0f,0xd5,0x6a,0xf6,0x00,0x02]

v_min_num_f32_e64 v5, vcc_hi, 0xaf123456
// GFX1170: v_min_num_f32_e64 v5, vcc_hi, 0xaf123456 ; encoding: [0x05,0x00,0x0f,0xd5,0x6b,0xfe,0x01,0x02,0x56,0x34,0x12,0xaf]

v_min_num_f32_e64 v5, ttmp15, src_scc
// GFX1170: v_min_num_f32_e64 v5, ttmp15, src_scc   ; encoding: [0x05,0x00,0x0f,0xd5,0x7b,0xfa,0x01,0x02]

v_min_num_f32_e64 v5, m0, 0.5
// GFX1170: v_min_num_f32_e64 v5, m0, 0.5           ; encoding: [0x05,0x00,0x0f,0xd5,0x7d,0xe0,0x01,0x02]

v_min_num_f32_e64 v5, exec_lo, -1
// GFX1170: v_min_num_f32_e64 v5, exec_lo, -1       ; encoding: [0x05,0x00,0x0f,0xd5,0x7e,0x82,0x01,0x02]

v_min_num_f32_e64 v5, |exec_hi|, null
// GFX1170: v_min_num_f32_e64 v5, |exec_hi|, null   ; encoding: [0x05,0x01,0x0f,0xd5,0x7f,0xf8,0x00,0x02]

v_min_num_f32_e64 v5, null, exec_lo
// GFX1170: v_min_num_f32_e64 v5, null, exec_lo     ; encoding: [0x05,0x00,0x0f,0xd5,0x7c,0xfc,0x00,0x02]

v_min_num_f32_e64 v5, -1, exec_hi
// GFX1170: v_min_num_f32_e64 v5, -1, exec_hi       ; encoding: [0x05,0x00,0x0f,0xd5,0xc1,0xfe,0x00,0x02]

v_min_num_f32_e64 v5, 0.5, -m0 mul:2
// GFX1170: v_min_num_f32_e64 v5, 0.5, -m0 mul:2    ; encoding: [0x05,0x00,0x0f,0xd5,0xf0,0xfa,0x00,0x4a]

v_min_num_f32_e64 v5, -src_scc, |vcc_lo| mul:4
// GFX1170: v_min_num_f32_e64 v5, -src_scc, |vcc_lo| mul:4 ; encoding: [0x05,0x02,0x0f,0xd5,0xfd,0xd4,0x00,0x32]

v_min_num_f32_e64 v255, -|0xaf123456|, -|vcc_hi| clamp div:2
// GFX1170: v_min_num_f32_e64 v255, -|0xaf123456|, -|vcc_hi| clamp div:2 ; encoding: [0xff,0x83,0x0f,0xd5,0xff,0xd6,0x00,0x7a,0x56,0x34,0x12,0xaf]

v_min_num_f64_e64 v[5:6], v[2:3], v[4:5]
// GFX1170: v_min_num_f64 v[5:6], v[2:3], v[4:5]    ; encoding: [0x05,0x00,0x29,0xd7,0x02,0x09,0x02,0x02]

v_min_num_f64_e64 v[5:6], v[104:105], v[104:105]
// GFX1170: v_min_num_f64 v[5:6], v[104:105], v[104:105] ; encoding: [0x05,0x00,0x29,0xd7,0x68,0xd1,0x02,0x02]

v_min_num_f64_e64 v[5:6], s[2:3], s[4:5]
// GFX1170: v_min_num_f64 v[5:6], s[2:3], s[4:5]    ; encoding: [0x05,0x00,0x29,0xd7,0x02,0x08,0x00,0x02]

v_min_num_f64_e64 v[5:6], s[104:105], s[104:105]
// GFX1170: v_min_num_f64 v[5:6], s[104:105], s[104:105] ; encoding: [0x05,0x00,0x29,0xd7,0x68,0xd0,0x00,0x02]

v_min_num_f64_e64 v[5:6], vcc, ttmp[14:15]
// GFX1170: v_min_num_f64 v[5:6], vcc, ttmp[14:15]  ; encoding: [0x05,0x00,0x29,0xd7,0x6a,0xf4,0x00,0x02]

v_min_num_f64_e64 v[5:6], ttmp[14:15], 0xaf123456
// GFX1170: v_min_num_f64 v[5:6], ttmp[14:15], 0xaf123456 ; encoding: [0x05,0x00,0x29,0xd7,0x7a,0xfe,0x01,0x02,0x56,0x34,0x12,0xaf]

v_min_num_f64_e64 v[5:6], -|exec|, src_scc
// GFX1170: v_min_num_f64 v[5:6], -|exec|, src_scc  ; encoding: [0x05,0x01,0x29,0xd7,0x7e,0xfa,0x01,0x22]

v_min_num_f64_e64 v[5:6], null, 0.5
// GFX1170: v_min_num_f64 v[5:6], null, 0.5         ; encoding: [0x05,0x00,0x29,0xd7,0x7c,0xe0,0x01,0x02]

v_min_num_f64_e64 v[5:6], -1, -1
// GFX1170: v_min_num_f64 v[5:6], -1, -1            ; encoding: [0x05,0x00,0x29,0xd7,0xc1,0x82,0x01,0x02]

v_min_num_f64_e64 v[5:6], 0.5, null mul:2
// GFX1170: v_min_num_f64 v[5:6], 0.5, null mul:2   ; encoding: [0x05,0x00,0x29,0xd7,0xf0,0xf8,0x00,0x0a]

v_min_num_f64_e64 v[5:6], -|src_scc|, -|exec| mul:4
// GFX1170: v_min_num_f64 v[5:6], -|src_scc|, -|exec| mul:4 ; encoding: [0x05,0x03,0x29,0xd7,0xfd,0xfc,0x00,0x72]

v_min_num_f64_e64 v[254:255], 0xaf123456, -|vcc| clamp div:2
// GFX1170: v_min_num_f64 v[254:255], 0xaf123456, -|vcc| clamp div:2 ; encoding: [0xfe,0x82,0x29,0xd7,0xff,0xd4,0x00,0x5a,0x56,0x34,0x12,0xaf]
